;; amdgpu-corpus repo=ROCm/rocFFT kind=compiled arch=gfx1030 opt=O3
	.text
	.amdgcn_target "amdgcn-amd-amdhsa--gfx1030"
	.amdhsa_code_object_version 6
	.protected	fft_rtc_fwd_len198_factors_11_2_9_wgs_110_tpt_22_dp_op_CI_CI_unitstride_sbrr_R2C_dirReg ; -- Begin function fft_rtc_fwd_len198_factors_11_2_9_wgs_110_tpt_22_dp_op_CI_CI_unitstride_sbrr_R2C_dirReg
	.globl	fft_rtc_fwd_len198_factors_11_2_9_wgs_110_tpt_22_dp_op_CI_CI_unitstride_sbrr_R2C_dirReg
	.p2align	8
	.type	fft_rtc_fwd_len198_factors_11_2_9_wgs_110_tpt_22_dp_op_CI_CI_unitstride_sbrr_R2C_dirReg,@function
fft_rtc_fwd_len198_factors_11_2_9_wgs_110_tpt_22_dp_op_CI_CI_unitstride_sbrr_R2C_dirReg: ; @fft_rtc_fwd_len198_factors_11_2_9_wgs_110_tpt_22_dp_op_CI_CI_unitstride_sbrr_R2C_dirReg
; %bb.0:
	s_load_dwordx4 s[12:15], s[4:5], 0x0
	v_mul_u32_u24_e32 v1, 0xba3, v0
	s_clause 0x1
	s_load_dwordx4 s[8:11], s[4:5], 0x58
	s_load_dwordx4 s[16:19], s[4:5], 0x18
	v_mov_b32_e32 v5, 0
	v_lshrrev_b32_e32 v3, 16, v1
	v_mov_b32_e32 v1, 0
	v_mov_b32_e32 v2, 0
	v_mad_u64_u32 v[3:4], null, s6, 5, v[3:4]
	v_mov_b32_e32 v4, v5
	v_mov_b32_e32 v53, v2
	;; [unrolled: 1-line block ×5, first 2 shown]
	s_waitcnt lgkmcnt(0)
	v_cmp_lt_u64_e64 s0, s[14:15], 2
	s_and_b32 vcc_lo, exec_lo, s0
	s_cbranch_vccnz .LBB0_8
; %bb.1:
	s_load_dwordx2 s[0:1], s[4:5], 0x10
	v_mov_b32_e32 v1, 0
	v_mov_b32_e32 v2, 0
	s_add_u32 s2, s18, 8
	v_mov_b32_e32 v8, v4
	s_addc_u32 s3, s19, 0
	v_mov_b32_e32 v7, v3
	v_mov_b32_e32 v53, v2
	s_add_u32 s6, s16, 8
	v_mov_b32_e32 v52, v1
	s_addc_u32 s7, s17, 0
	s_mov_b64 s[22:23], 1
	s_waitcnt lgkmcnt(0)
	s_add_u32 s20, s0, 8
	s_addc_u32 s21, s1, 0
.LBB0_2:                                ; =>This Inner Loop Header: Depth=1
	s_load_dwordx2 s[24:25], s[20:21], 0x0
                                        ; implicit-def: $vgpr54_vgpr55
	s_mov_b32 s0, exec_lo
	s_waitcnt lgkmcnt(0)
	v_or_b32_e32 v6, s25, v8
	v_cmpx_ne_u64_e32 0, v[5:6]
	s_xor_b32 s1, exec_lo, s0
	s_cbranch_execz .LBB0_4
; %bb.3:                                ;   in Loop: Header=BB0_2 Depth=1
	v_cvt_f32_u32_e32 v4, s24
	v_cvt_f32_u32_e32 v6, s25
	s_sub_u32 s0, 0, s24
	s_subb_u32 s26, 0, s25
	v_fmac_f32_e32 v4, 0x4f800000, v6
	v_rcp_f32_e32 v4, v4
	v_mul_f32_e32 v4, 0x5f7ffffc, v4
	v_mul_f32_e32 v6, 0x2f800000, v4
	v_trunc_f32_e32 v6, v6
	v_fmac_f32_e32 v4, 0xcf800000, v6
	v_cvt_u32_f32_e32 v6, v6
	v_cvt_u32_f32_e32 v4, v4
	v_mul_lo_u32 v9, s0, v6
	v_mul_hi_u32 v10, s0, v4
	v_mul_lo_u32 v11, s26, v4
	v_add_nc_u32_e32 v9, v10, v9
	v_mul_lo_u32 v10, s0, v4
	v_add_nc_u32_e32 v9, v9, v11
	v_mul_hi_u32 v11, v4, v10
	v_mul_lo_u32 v12, v4, v9
	v_mul_hi_u32 v13, v4, v9
	v_mul_hi_u32 v14, v6, v10
	v_mul_lo_u32 v10, v6, v10
	v_mul_hi_u32 v15, v6, v9
	v_mul_lo_u32 v9, v6, v9
	v_add_co_u32 v11, vcc_lo, v11, v12
	v_add_co_ci_u32_e32 v12, vcc_lo, 0, v13, vcc_lo
	v_add_co_u32 v10, vcc_lo, v11, v10
	v_add_co_ci_u32_e32 v10, vcc_lo, v12, v14, vcc_lo
	v_add_co_ci_u32_e32 v11, vcc_lo, 0, v15, vcc_lo
	v_add_co_u32 v9, vcc_lo, v10, v9
	v_add_co_ci_u32_e32 v10, vcc_lo, 0, v11, vcc_lo
	v_add_co_u32 v4, vcc_lo, v4, v9
	v_add_co_ci_u32_e32 v6, vcc_lo, v6, v10, vcc_lo
	v_mul_hi_u32 v9, s0, v4
	v_mul_lo_u32 v11, s26, v4
	v_mul_lo_u32 v10, s0, v6
	v_add_nc_u32_e32 v9, v9, v10
	v_mul_lo_u32 v10, s0, v4
	v_add_nc_u32_e32 v9, v9, v11
	v_mul_hi_u32 v11, v4, v10
	v_mul_lo_u32 v12, v4, v9
	v_mul_hi_u32 v13, v4, v9
	v_mul_hi_u32 v14, v6, v10
	v_mul_lo_u32 v10, v6, v10
	v_mul_hi_u32 v15, v6, v9
	v_mul_lo_u32 v9, v6, v9
	v_add_co_u32 v11, vcc_lo, v11, v12
	v_add_co_ci_u32_e32 v12, vcc_lo, 0, v13, vcc_lo
	v_add_co_u32 v10, vcc_lo, v11, v10
	v_add_co_ci_u32_e32 v10, vcc_lo, v12, v14, vcc_lo
	v_add_co_ci_u32_e32 v11, vcc_lo, 0, v15, vcc_lo
	v_add_co_u32 v9, vcc_lo, v10, v9
	v_add_co_ci_u32_e32 v10, vcc_lo, 0, v11, vcc_lo
	v_add_co_u32 v4, vcc_lo, v4, v9
	v_add_co_ci_u32_e32 v6, vcc_lo, v6, v10, vcc_lo
	v_mul_hi_u32 v15, v7, v4
	v_mad_u64_u32 v[11:12], null, v8, v4, 0
	v_mad_u64_u32 v[9:10], null, v7, v6, 0
	;; [unrolled: 1-line block ×3, first 2 shown]
	v_add_co_u32 v4, vcc_lo, v15, v9
	v_add_co_ci_u32_e32 v6, vcc_lo, 0, v10, vcc_lo
	v_add_co_u32 v4, vcc_lo, v4, v11
	v_add_co_ci_u32_e32 v4, vcc_lo, v6, v12, vcc_lo
	v_add_co_ci_u32_e32 v6, vcc_lo, 0, v14, vcc_lo
	v_add_co_u32 v4, vcc_lo, v4, v13
	v_add_co_ci_u32_e32 v6, vcc_lo, 0, v6, vcc_lo
	v_mul_lo_u32 v11, s25, v4
	v_mad_u64_u32 v[9:10], null, s24, v4, 0
	v_mul_lo_u32 v12, s24, v6
	v_sub_co_u32 v9, vcc_lo, v7, v9
	v_add3_u32 v10, v10, v12, v11
	v_sub_nc_u32_e32 v11, v8, v10
	v_subrev_co_ci_u32_e64 v11, s0, s25, v11, vcc_lo
	v_add_co_u32 v12, s0, v4, 2
	v_add_co_ci_u32_e64 v13, s0, 0, v6, s0
	v_sub_co_u32 v14, s0, v9, s24
	v_sub_co_ci_u32_e32 v10, vcc_lo, v8, v10, vcc_lo
	v_subrev_co_ci_u32_e64 v11, s0, 0, v11, s0
	v_cmp_le_u32_e32 vcc_lo, s24, v14
	v_cmp_eq_u32_e64 s0, s25, v10
	v_cndmask_b32_e64 v14, 0, -1, vcc_lo
	v_cmp_le_u32_e32 vcc_lo, s25, v11
	v_cndmask_b32_e64 v15, 0, -1, vcc_lo
	v_cmp_le_u32_e32 vcc_lo, s24, v9
	;; [unrolled: 2-line block ×3, first 2 shown]
	v_cndmask_b32_e64 v16, 0, -1, vcc_lo
	v_cmp_eq_u32_e32 vcc_lo, s25, v11
	v_cndmask_b32_e64 v9, v16, v9, s0
	v_cndmask_b32_e32 v11, v15, v14, vcc_lo
	v_add_co_u32 v14, vcc_lo, v4, 1
	v_add_co_ci_u32_e32 v15, vcc_lo, 0, v6, vcc_lo
	v_cmp_ne_u32_e32 vcc_lo, 0, v11
	v_cndmask_b32_e32 v10, v15, v13, vcc_lo
	v_cndmask_b32_e32 v11, v14, v12, vcc_lo
	v_cmp_ne_u32_e32 vcc_lo, 0, v9
	v_cndmask_b32_e32 v55, v6, v10, vcc_lo
	v_cndmask_b32_e32 v54, v4, v11, vcc_lo
.LBB0_4:                                ;   in Loop: Header=BB0_2 Depth=1
	s_andn2_saveexec_b32 s0, s1
	s_cbranch_execz .LBB0_6
; %bb.5:                                ;   in Loop: Header=BB0_2 Depth=1
	v_cvt_f32_u32_e32 v4, s24
	s_sub_i32 s1, 0, s24
	v_mov_b32_e32 v55, v5
	v_rcp_iflag_f32_e32 v4, v4
	v_mul_f32_e32 v4, 0x4f7ffffe, v4
	v_cvt_u32_f32_e32 v4, v4
	v_mul_lo_u32 v6, s1, v4
	v_mul_hi_u32 v6, v4, v6
	v_add_nc_u32_e32 v4, v4, v6
	v_mul_hi_u32 v4, v7, v4
	v_mul_lo_u32 v6, v4, s24
	v_add_nc_u32_e32 v9, 1, v4
	v_sub_nc_u32_e32 v6, v7, v6
	v_subrev_nc_u32_e32 v10, s24, v6
	v_cmp_le_u32_e32 vcc_lo, s24, v6
	v_cndmask_b32_e32 v6, v6, v10, vcc_lo
	v_cndmask_b32_e32 v4, v4, v9, vcc_lo
	v_cmp_le_u32_e32 vcc_lo, s24, v6
	v_add_nc_u32_e32 v9, 1, v4
	v_cndmask_b32_e32 v54, v4, v9, vcc_lo
.LBB0_6:                                ;   in Loop: Header=BB0_2 Depth=1
	s_or_b32 exec_lo, exec_lo, s0
	v_mul_lo_u32 v4, v55, s24
	v_mul_lo_u32 v6, v54, s25
	s_load_dwordx2 s[0:1], s[6:7], 0x0
	v_mad_u64_u32 v[9:10], null, v54, s24, 0
	s_load_dwordx2 s[24:25], s[2:3], 0x0
	s_add_u32 s22, s22, 1
	s_addc_u32 s23, s23, 0
	s_add_u32 s2, s2, 8
	s_addc_u32 s3, s3, 0
	s_add_u32 s6, s6, 8
	v_add3_u32 v4, v10, v6, v4
	v_sub_co_u32 v6, vcc_lo, v7, v9
	s_addc_u32 s7, s7, 0
	s_add_u32 s20, s20, 8
	v_sub_co_ci_u32_e32 v4, vcc_lo, v8, v4, vcc_lo
	s_addc_u32 s21, s21, 0
	s_waitcnt lgkmcnt(0)
	v_mul_lo_u32 v7, s0, v4
	v_mul_lo_u32 v8, s1, v6
	v_mad_u64_u32 v[1:2], null, s0, v6, v[1:2]
	v_mul_lo_u32 v4, s24, v4
	v_mul_lo_u32 v9, s25, v6
	v_mad_u64_u32 v[52:53], null, s24, v6, v[52:53]
	v_cmp_ge_u64_e64 s0, s[22:23], s[14:15]
	v_add3_u32 v2, v8, v2, v7
	v_add3_u32 v53, v9, v53, v4
	s_and_b32 vcc_lo, exec_lo, s0
	s_cbranch_vccnz .LBB0_8
; %bb.7:                                ;   in Loop: Header=BB0_2 Depth=1
	v_mov_b32_e32 v7, v54
	v_mov_b32_e32 v8, v55
	s_branch .LBB0_2
.LBB0_8:
	s_load_dwordx2 s[0:1], s[4:5], 0x28
	v_mul_hi_u32 v4, 0xcccccccd, v3
	s_lshl_b64 s[4:5], s[14:15], 3
                                        ; implicit-def: $vgpr56
	s_add_u32 s2, s18, s4
	s_addc_u32 s3, s19, s5
	v_lshrrev_b32_e32 v4, 2, v4
	v_lshl_add_u32 v5, v4, 2, v4
	v_mul_hi_u32 v4, 0xba2e8bb, v0
	v_sub_nc_u32_e32 v3, v3, v5
	s_waitcnt lgkmcnt(0)
	v_cmp_gt_u64_e32 vcc_lo, s[0:1], v[54:55]
	v_cmp_le_u64_e64 s0, s[0:1], v[54:55]
	s_and_saveexec_b32 s1, s0
	s_xor_b32 s0, exec_lo, s1
; %bb.9:
	v_mul_u32_u24_e32 v1, 22, v4
                                        ; implicit-def: $vgpr4
	v_sub_nc_u32_e32 v56, v0, v1
                                        ; implicit-def: $vgpr0
                                        ; implicit-def: $vgpr1_vgpr2
; %bb.10:
	s_or_saveexec_b32 s1, s0
	v_mul_u32_u24_e32 v3, 0xc7, v3
	v_lshlrev_b32_e32 v141, 4, v3
	s_xor_b32 exec_lo, exec_lo, s1
	s_cbranch_execz .LBB0_12
; %bb.11:
	s_add_u32 s4, s16, s4
	s_addc_u32 s5, s17, s5
	v_lshlrev_b64 v[1:2], 4, v[1:2]
	s_load_dwordx2 s[4:5], s[4:5], 0x0
	s_waitcnt lgkmcnt(0)
	v_mul_lo_u32 v3, s5, v54
	v_mul_lo_u32 v7, s4, v55
	v_mad_u64_u32 v[5:6], null, s4, v54, 0
	v_add3_u32 v6, v6, v7, v3
	v_mul_u32_u24_e32 v7, 22, v4
	v_lshlrev_b64 v[3:4], 4, v[5:6]
	v_sub_nc_u32_e32 v56, v0, v7
	v_lshlrev_b32_e32 v36, 4, v56
	v_add_co_u32 v0, s0, s8, v3
	v_add_co_ci_u32_e64 v3, s0, s9, v4, s0
	v_add_co_u32 v0, s0, v0, v1
	v_add_co_ci_u32_e64 v1, s0, v3, v2, s0
	;; [unrolled: 2-line block ×3, first 2 shown]
	s_clause 0x1
	global_load_dwordx4 v[0:3], v[20:21], off
	global_load_dwordx4 v[4:7], v[20:21], off offset:352
	v_add_co_u32 v32, s0, 0x800, v20
	v_add_co_ci_u32_e64 v33, s0, 0, v21, s0
	s_clause 0x6
	global_load_dwordx4 v[8:11], v[20:21], off offset:704
	global_load_dwordx4 v[12:15], v[20:21], off offset:1056
	;; [unrolled: 1-line block ×7, first 2 shown]
	v_add3_u32 v36, 0, v141, v36
	s_waitcnt vmcnt(8)
	ds_write_b128 v36, v[0:3]
	s_waitcnt vmcnt(7)
	ds_write_b128 v36, v[4:7] offset:352
	s_waitcnt vmcnt(6)
	ds_write_b128 v36, v[8:11] offset:704
	;; [unrolled: 2-line block ×8, first 2 shown]
.LBB0_12:
	s_or_b32 exec_lo, exec_lo, s1
	v_lshlrev_b32_e32 v139, 4, v56
	s_waitcnt lgkmcnt(0)
	s_barrier
	buffer_gl0_inv
	v_add_nc_u32_e32 v137, 0, v141
	v_add_nc_u32_e32 v142, 0, v139
	s_mov_b32 s6, 0x8eee2c13
	s_mov_b32 s8, 0x43842ef
	;; [unrolled: 1-line block ×3, first 2 shown]
	v_add_nc_u32_e32 v138, v137, v139
	v_add_nc_u32_e32 v140, v142, v141
	s_mov_b32 s9, 0xbfefac9e
	s_mov_b32 s4, 0xd9c712b6
	;; [unrolled: 1-line block ×4, first 2 shown]
	ds_read_b128 v[8:11], v140 offset:2880
	ds_read_b128 v[36:39], v140 offset:288
	ds_read_b128 v[12:15], v140 offset:2592
	ds_read_b128 v[48:51], v140 offset:576
	ds_read_b128 v[20:23], v138
	ds_read_b128 v[44:47], v140 offset:864
	ds_read_b128 v[16:19], v140 offset:2304
	s_mov_b32 s22, 0x640f44db
	s_mov_b32 s5, 0x3fda9628
	;; [unrolled: 1-line block ×5, first 2 shown]
	ds_read_b128 v[24:27], v140 offset:2016
	ds_read_b128 v[40:43], v140 offset:1152
	s_mov_b32 s18, 0x7f775887
	s_mov_b32 s16, 0x9bcd5057
	;; [unrolled: 1-line block ×6, first 2 shown]
	ds_read_b128 v[32:35], v140 offset:1440
	ds_read_b128 v[28:31], v140 offset:1728
	s_mov_b32 s30, 0xf8bb580b
	s_mov_b32 s27, 0x3fefac9e
	;; [unrolled: 1-line block ×3, first 2 shown]
	s_waitcnt lgkmcnt(9)
	v_add_f64 v[133:134], v[38:39], -v[10:11]
	v_add_f64 v[59:60], v[36:37], -v[8:9]
	s_waitcnt lgkmcnt(7)
	v_add_f64 v[109:110], v[50:51], -v[14:15]
	v_add_f64 v[57:58], v[48:49], -v[12:13]
	v_add_f64 v[73:74], v[36:37], v[8:9]
	v_add_f64 v[135:136], v[38:39], v[10:11]
	s_waitcnt lgkmcnt(4)
	v_add_f64 v[89:90], v[46:47], -v[18:19]
	v_add_f64 v[65:66], v[44:45], -v[16:17]
	v_add_f64 v[85:86], v[48:49], v[12:13]
	v_add_f64 v[131:132], v[50:51], v[14:15]
	;; [unrolled: 1-line block ×4, first 2 shown]
	s_waitcnt lgkmcnt(2)
	v_add_f64 v[79:80], v[42:43], -v[26:27]
	v_add_f64 v[63:64], v[40:41], -v[24:25]
	s_mov_b32 s26, s8
	v_add_f64 v[67:68], v[40:41], v[24:25]
	v_add_f64 v[107:108], v[42:43], v[26:27]
	s_waitcnt lgkmcnt(0)
	v_add_f64 v[75:76], v[34:35], -v[30:31]
	v_add_f64 v[61:62], v[32:33], -v[28:29]
	s_mov_b32 s28, 0x8764f0ba
	s_mov_b32 s29, 0x3feaeb8c
	;; [unrolled: 1-line block ×3, first 2 shown]
	v_mul_f64 v[93:94], v[133:134], s[6:7]
	v_mul_f64 v[97:98], v[59:60], s[6:7]
	;; [unrolled: 1-line block ×16, first 2 shown]
	s_mov_b32 s34, s30
	v_add_f64 v[103:104], v[34:35], v[30:31]
	v_mul_f64 v[99:100], v[61:62], s[20:21]
	s_mov_b32 s33, exec_lo
	s_barrier
	v_fma_f64 v[0:1], v[73:74], s[4:5], v[93:94]
	v_fma_f64 v[2:3], v[135:136], s[4:5], -v[97:98]
	v_fma_f64 v[4:5], v[73:74], s[22:23], v[125:126]
	v_fma_f64 v[6:7], v[135:136], s[22:23], -v[129:130]
	;; [unrolled: 2-line block ×8, first 2 shown]
	buffer_gl0_inv
	v_add_f64 v[0:1], v[20:21], v[0:1]
	v_add_f64 v[2:3], v[22:23], v[2:3]
	v_add_f64 v[4:5], v[20:21], v[4:5]
	v_add_f64 v[6:7], v[22:23], v[6:7]
	v_add_f64 v[0:1], v[71:72], v[0:1]
	v_add_f64 v[2:3], v[77:78], v[2:3]
	v_add_f64 v[4:5], v[83:84], v[4:5]
	v_add_f64 v[6:7], v[91:92], v[6:7]
	v_add_f64 v[71:72], v[32:33], v[28:29]
	v_mul_f64 v[77:78], v[75:76], s[34:35]
	v_mul_f64 v[83:84], v[61:62], s[34:35]
	;; [unrolled: 1-line block ×3, first 2 shown]
	v_add_f64 v[0:1], v[143:144], v[0:1]
	v_add_f64 v[2:3], v[145:146], v[2:3]
	;; [unrolled: 1-line block ×4, first 2 shown]
	v_fma_f64 v[149:150], v[103:104], s[18:19], -v[99:100]
	v_fma_f64 v[143:144], v[71:72], s[28:29], v[77:78]
	v_fma_f64 v[145:146], v[103:104], s[28:29], -v[83:84]
	v_fma_f64 v[147:148], v[71:72], s[18:19], v[91:92]
	v_add_f64 v[0:1], v[151:152], v[0:1]
	v_add_f64 v[2:3], v[153:154], v[2:3]
	;; [unrolled: 1-line block ×8, first 2 shown]
	v_cmpx_gt_u32_e32 18, v56
	s_cbranch_execz .LBB0_14
; %bb.13:
	v_add_f64 v[38:39], v[22:23], v[38:39]
	v_add_f64 v[36:37], v[20:21], v[36:37]
	s_mov_b32 s1, 0xbfd207e7
	s_mov_b32 s0, s14
	v_mul_f64 v[145:146], v[133:134], s[20:21]
	v_mul_f64 v[149:150], v[133:134], s[30:31]
	;; [unrolled: 1-line block ×3, first 2 shown]
	s_mov_b32 s37, 0x3fe82f19
	s_mov_b32 s36, s20
	v_mul_f64 v[143:144], v[135:136], s[22:23]
	v_mul_f64 v[151:152], v[131:132], s[28:29]
	;; [unrolled: 1-line block ×13, first 2 shown]
	v_add_f64 v[38:39], v[38:39], v[50:51]
	v_add_f64 v[36:37], v[36:37], v[48:49]
	v_mul_f64 v[48:49], v[135:136], s[16:17]
	v_mul_f64 v[50:51], v[135:136], s[18:19]
	v_fma_f64 v[191:192], v[73:74], s[18:19], v[145:146]
	v_fma_f64 v[145:146], v[73:74], s[18:19], -v[145:146]
	v_fma_f64 v[179:180], v[73:74], s[16:17], v[133:134]
	v_fma_f64 v[133:134], v[73:74], s[16:17], -v[133:134]
	v_mul_f64 v[177:178], v[89:90], s[30:31]
	v_add_f64 v[129:130], v[129:130], v[143:144]
	v_fma_f64 v[193:194], v[57:58], s[30:31], v[151:152]
	v_fma_f64 v[151:152], v[57:58], s[34:35], v[151:152]
	v_add_f64 v[93:94], v[147:148], -v[93:94]
	v_mul_f64 v[187:188], v[113:114], s[16:17]
	v_mul_f64 v[89:90], v[89:90], s[8:9]
	v_add_f64 v[123:124], v[123:124], v[155:156]
	v_mul_f64 v[189:190], v[69:70], s[16:17]
	v_mul_f64 v[159:160], v[113:114], s[4:5]
	;; [unrolled: 1-line block ×4, first 2 shown]
	v_add_f64 v[115:116], v[167:168], -v[115:116]
	v_add_f64 v[119:120], v[157:158], -v[119:120]
	v_add_f64 v[38:39], v[38:39], v[46:47]
	v_add_f64 v[36:37], v[36:37], v[44:45]
	v_fma_f64 v[169:170], v[59:60], s[14:15], v[48:49]
	v_fma_f64 v[48:49], v[59:60], s[0:1], v[48:49]
	v_fma_f64 v[173:174], v[59:60], s[36:37], v[50:51]
	v_mul_f64 v[44:45], v[73:74], s[22:23]
	v_mul_f64 v[46:47], v[135:136], s[4:5]
	;; [unrolled: 1-line block ×3, first 2 shown]
	v_add_f64 v[179:180], v[20:21], v[179:180]
	v_add_f64 v[133:134], v[20:21], v[133:134]
	;; [unrolled: 1-line block ×5, first 2 shown]
	v_mul_f64 v[183:184], v[107:108], s[16:17]
	v_mul_f64 v[155:156], v[107:108], s[28:29]
	v_add_f64 v[111:112], v[111:112], v[187:188]
	v_add_f64 v[101:102], v[189:190], -v[101:102]
	v_add_f64 v[127:128], v[127:128], v[159:160]
	v_fma_f64 v[159:160], v[65:66], s[30:31], v[171:172]
	v_fma_f64 v[157:158], v[69:70], s[28:29], v[177:178]
	v_add_f64 v[38:39], v[38:39], v[42:43]
	v_add_f64 v[36:37], v[36:37], v[40:41]
	v_mul_f64 v[40:41], v[109:110], s[34:35]
	v_mul_f64 v[42:43], v[113:114], s[18:19]
	v_add_f64 v[48:49], v[22:23], v[48:49]
	v_add_f64 v[173:174], v[22:23], v[173:174]
	v_mul_f64 v[109:110], v[109:110], s[6:7]
	v_add_f64 v[44:45], v[44:45], -v[125:126]
	v_add_f64 v[46:47], v[97:98], v[46:47]
	v_fma_f64 v[147:148], v[59:60], s[34:35], v[135:136]
	v_add_f64 v[169:170], v[22:23], v[169:170]
	v_mul_f64 v[125:126], v[107:108], s[22:23]
	v_mul_f64 v[97:98], v[67:68], s[28:29]
	;; [unrolled: 1-line block ×3, first 2 shown]
	v_add_f64 v[93:94], v[115:116], v[93:94]
	v_add_f64 v[105:106], v[105:106], v[155:156]
	;; [unrolled: 1-line block ×4, first 2 shown]
	v_fma_f64 v[38:39], v[59:60], s[20:21], v[50:51]
	v_fma_f64 v[50:51], v[57:58], s[8:9], v[153:154]
	;; [unrolled: 1-line block ×3, first 2 shown]
	v_fma_f64 v[40:41], v[85:86], s[28:29], -v[40:41]
	v_fma_f64 v[59:60], v[59:60], s[30:31], v[135:136]
	v_add_f64 v[48:49], v[151:152], v[48:49]
	v_fma_f64 v[151:152], v[73:74], s[28:29], v[149:150]
	v_fma_f64 v[73:74], v[73:74], s[28:29], -v[149:150]
	v_mul_f64 v[149:150], v[75:76], s[8:9]
	v_add_f64 v[44:45], v[20:21], v[44:45]
	v_add_f64 v[46:47], v[22:23], v[46:47]
	v_fma_f64 v[153:154], v[57:58], s[26:27], v[153:154]
	v_add_f64 v[169:170], v[193:194], v[169:170]
	v_fma_f64 v[193:194], v[85:86], s[22:23], v[163:164]
	v_mul_f64 v[36:37], v[67:68], s[22:23]
	v_add_f64 v[87:88], v[87:88], v[125:126]
	v_mul_f64 v[135:136], v[103:104], s[22:23]
	v_add_f64 v[30:31], v[34:35], v[30:31]
	v_add_f64 v[28:29], v[32:33], v[28:29]
	;; [unrolled: 1-line block ×4, first 2 shown]
	v_fma_f64 v[173:174], v[65:66], s[36:37], v[42:43]
	v_fma_f64 v[42:43], v[65:66], s[20:21], v[42:43]
	v_add_f64 v[143:144], v[143:144], v[179:180]
	v_fma_f64 v[179:180], v[65:66], s[34:35], v[171:172]
	v_add_f64 v[40:41], v[40:41], v[133:134]
	;; [unrolled: 2-line block ×3, first 2 shown]
	v_add_f64 v[34:35], v[165:166], -v[121:122]
	v_fma_f64 v[117:118], v[57:58], s[6:7], v[131:132]
	v_add_f64 v[121:122], v[20:21], v[145:146]
	v_fma_f64 v[57:58], v[57:58], s[24:25], v[131:132]
	v_add_f64 v[44:45], v[119:120], v[44:45]
	v_fma_f64 v[175:176], v[69:70], s[18:19], -v[175:176]
	v_add_f64 v[191:192], v[193:194], v[191:192]
	v_mul_f64 v[131:132], v[103:104], s[28:29]
	v_add_f64 v[36:37], v[36:37], -v[81:82]
	v_mul_f64 v[81:82], v[103:104], s[16:17]
	v_mul_f64 v[145:146], v[103:104], s[18:19]
	v_add_f64 v[26:27], v[30:31], v[26:27]
	v_add_f64 v[24:25], v[28:29], v[24:25]
	v_fma_f64 v[28:29], v[85:86], s[4:5], -v[109:110]
	v_mul_f64 v[30:31], v[113:114], s[22:23]
	v_add_f64 v[38:39], v[153:154], v[38:39]
	v_add_f64 v[42:43], v[42:43], v[48:49]
	v_fma_f64 v[153:154], v[67:68], s[4:5], v[185:186]
	v_add_f64 v[48:49], v[179:180], v[50:51]
	v_mul_f64 v[113:114], v[103:104], s[4:5]
	v_add_f64 v[50:51], v[133:134], v[143:144]
	v_add_f64 v[133:134], v[22:23], v[147:148]
	v_add_f64 v[143:144], v[20:21], v[151:152]
	v_add_f64 v[22:23], v[22:23], v[59:60]
	v_add_f64 v[20:21], v[20:21], v[73:74]
	v_add_f64 v[59:60], v[123:124], v[129:130]
	v_fma_f64 v[123:124], v[85:86], s[22:23], -v[163:164]
	v_fma_f64 v[85:86], v[85:86], s[4:5], v[109:110]
	v_mul_f64 v[109:110], v[79:80], s[0:1]
	v_add_f64 v[32:33], v[32:33], v[46:47]
	v_fma_f64 v[147:148], v[71:72], s[22:23], -v[149:150]
	v_mul_f64 v[79:80], v[79:80], s[20:21]
	v_fma_f64 v[151:152], v[69:70], s[28:29], -v[177:178]
	v_add_f64 v[18:19], v[26:27], v[18:19]
	v_add_f64 v[16:17], v[24:25], v[16:17]
	v_mul_f64 v[46:47], v[71:72], s[18:19]
	v_mul_f64 v[129:130], v[71:72], s[28:29]
	v_add_f64 v[24:25], v[101:102], v[93:94]
	v_add_f64 v[26:27], v[34:35], v[44:45]
	;; [unrolled: 1-line block ×3, first 2 shown]
	v_fma_f64 v[171:172], v[63:64], s[6:7], v[181:182]
	v_fma_f64 v[181:182], v[63:64], s[24:25], v[181:182]
	v_add_f64 v[50:51], v[153:154], v[50:51]
	v_add_f64 v[57:58], v[57:58], v[133:134]
	v_fma_f64 v[153:154], v[63:64], s[0:1], v[183:184]
	v_add_f64 v[22:23], v[117:118], v[22:23]
	v_fma_f64 v[117:118], v[71:72], s[22:23], v[149:150]
	;; [unrolled: 2-line block ×3, first 2 shown]
	v_fma_f64 v[149:150], v[69:70], s[22:23], -v[89:90]
	v_add_f64 v[121:122], v[123:124], v[121:122]
	v_fma_f64 v[30:31], v[65:66], s[26:27], v[30:31]
	v_fma_f64 v[69:70], v[69:70], s[22:23], v[89:90]
	v_add_f64 v[85:86], v[85:86], v[143:144]
	v_mul_f64 v[65:66], v[75:76], s[24:25]
	v_add_f64 v[89:90], v[97:98], -v[95:96]
	v_add_f64 v[32:33], v[111:112], v[32:33]
	v_mul_f64 v[75:76], v[75:76], s[0:1]
	v_fma_f64 v[95:96], v[63:64], s[20:21], v[107:108]
	v_add_f64 v[59:60], v[127:128], v[59:60]
	v_fma_f64 v[133:134], v[67:68], s[16:17], v[109:110]
	v_fma_f64 v[109:110], v[67:68], s[16:17], -v[109:110]
	v_fma_f64 v[185:186], v[67:68], s[4:5], -v[185:186]
	v_add_f64 v[40:41], v[175:176], v[40:41]
	v_add_f64 v[169:170], v[173:174], v[169:170]
	v_fma_f64 v[193:194], v[63:64], s[14:15], v[183:184]
	v_add_f64 v[73:74], v[157:158], v[191:192]
	v_fma_f64 v[63:64], v[63:64], s[36:37], v[107:108]
	v_add_f64 v[93:94], v[18:19], v[14:15]
	v_add_f64 v[16:17], v[16:17], v[12:13]
	;; [unrolled: 1-line block ×3, first 2 shown]
	v_fma_f64 v[28:29], v[67:68], s[18:19], -v[79:80]
	v_add_f64 v[20:21], v[149:150], v[20:21]
	v_add_f64 v[34:35], v[151:152], v[121:122]
	;; [unrolled: 1-line block ×3, first 2 shown]
	v_fma_f64 v[57:58], v[67:68], s[18:19], v[79:80]
	v_add_f64 v[67:68], v[69:70], v[85:86]
	v_add_f64 v[46:47], v[46:47], -v[91:92]
	v_add_f64 v[83:84], v[83:84], v[131:132]
	v_add_f64 v[32:33], v[87:88], v[32:33]
	v_fma_f64 v[85:86], v[61:62], s[0:1], v[81:82]
	v_fma_f64 v[91:92], v[71:72], s[16:17], -v[75:76]
	v_add_f64 v[77:78], v[129:130], -v[77:78]
	v_add_f64 v[24:25], v[36:37], v[24:25]
	v_add_f64 v[79:80], v[99:100], v[145:146]
	;; [unrolled: 1-line block ×4, first 2 shown]
	v_fma_f64 v[44:45], v[61:62], s[24:25], v[113:114]
	v_add_f64 v[38:39], v[153:154], v[38:39]
	v_fma_f64 v[69:70], v[71:72], s[4:5], -v[65:66]
	v_add_f64 v[42:43], v[181:182], v[42:43]
	v_add_f64 v[40:41], v[185:186], v[40:41]
	;; [unrolled: 1-line block ×3, first 2 shown]
	v_fma_f64 v[115:116], v[61:62], s[26:27], v[135:136]
	v_add_f64 v[20:21], v[28:29], v[20:21]
	v_add_f64 v[89:90], v[109:110], v[34:35]
	v_fma_f64 v[135:136], v[61:62], s[8:9], v[135:136]
	v_add_f64 v[119:120], v[171:172], v[169:170]
	v_add_f64 v[48:49], v[193:194], v[48:49]
	v_fma_f64 v[123:124], v[61:62], s[6:7], v[113:114]
	v_fma_f64 v[65:66], v[71:72], s[4:5], v[65:66]
	v_add_f64 v[73:74], v[133:134], v[73:74]
	v_fma_f64 v[61:62], v[61:62], s[14:15], v[81:82]
	v_add_f64 v[63:64], v[63:64], v[30:31]
	;; [unrolled: 2-line block ×3, first 2 shown]
	v_add_f64 v[10:11], v[93:94], v[10:11]
	v_add_f64 v[8:9], v[16:17], v[8:9]
	;; [unrolled: 1-line block ×14, first 2 shown]
	v_mul_u32_u24_e32 v44, 0xa0, v56
	v_add_f64 v[38:39], v[123:124], v[48:49]
	v_add_f64 v[36:37], v[65:66], v[73:74]
	;; [unrolled: 1-line block ×3, first 2 shown]
	v_add3_u32 v44, v142, v44, v141
	v_add_f64 v[40:41], v[71:72], v[57:58]
	ds_write_b128 v44, v[8:11]
	ds_write_b128 v44, v[32:35] offset:16
	ds_write_b128 v44, v[28:31] offset:32
	ds_write_b128 v44, v[24:27] offset:48
	ds_write_b128 v44, v[20:23] offset:64
	ds_write_b128 v44, v[16:19] offset:80
	ds_write_b128 v44, v[12:15] offset:96
	ds_write_b128 v44, v[36:39] offset:112
	ds_write_b128 v44, v[0:3] offset:128
	ds_write_b128 v44, v[4:7] offset:144
	ds_write_b128 v44, v[40:43] offset:160
.LBB0_14:
	s_or_b32 exec_lo, exec_lo, s33
	s_waitcnt lgkmcnt(0)
	s_barrier
	buffer_gl0_inv
	ds_read_b128 v[8:11], v138
	ds_read_b128 v[12:15], v140 offset:352
	ds_read_b128 v[28:31], v140 offset:1584
	;; [unrolled: 1-line block ×7, first 2 shown]
	v_cmp_gt_u32_e64 s0, 11, v56
	s_and_saveexec_b32 s1, s0
	s_cbranch_execz .LBB0_16
; %bb.15:
	ds_read_b128 v[0:3], v140 offset:1408
	ds_read_b128 v[4:7], v140 offset:2992
.LBB0_16:
	s_or_b32 exec_lo, exec_lo, s1
	v_add_nc_u16 v45, v56, 22
	v_add_nc_u16 v46, v56, 44
	v_add_nc_u16 v47, v56, 0x42
	v_and_b32_e32 v40, 0xff, v45
	v_and_b32_e32 v41, 0xff, v46
	;; [unrolled: 1-line block ×3, first 2 shown]
	v_mul_lo_u16 v40, 0x75, v40
	v_mul_lo_u16 v41, 0x75, v41
	;; [unrolled: 1-line block ×3, first 2 shown]
	v_lshrrev_b16 v40, 8, v40
	v_lshrrev_b16 v41, 8, v41
	;; [unrolled: 1-line block ×3, first 2 shown]
	v_sub_nc_u16 v43, v45, v40
	v_sub_nc_u16 v44, v46, v41
	;; [unrolled: 1-line block ×3, first 2 shown]
	v_lshrrev_b16 v43, 1, v43
	v_lshrrev_b16 v44, 1, v44
	;; [unrolled: 1-line block ×3, first 2 shown]
	v_and_b32_e32 v43, 0x7f, v43
	v_and_b32_e32 v44, 0x7f, v44
	;; [unrolled: 1-line block ×3, first 2 shown]
	v_add_nc_u16 v40, v43, v40
	v_add_nc_u16 v43, v44, v41
	v_add_nc_u32_e32 v44, -11, v56
	v_add_nc_u16 v42, v48, v42
	v_mov_b32_e32 v41, 0
	v_lshrrev_b16 v51, 3, v40
	v_lshrrev_b16 v73, 3, v43
	v_cndmask_b32_e64 v40, v44, v56, s0
	v_lshrrev_b16 v74, 3, v42
	v_mov_b32_e32 v42, 4
	v_mul_lo_u16 v48, v51, 11
	v_mul_lo_u16 v49, v73, 11
	v_lshlrev_b64 v[43:44], 4, v[40:41]
	v_mul_lo_u16 v50, v74, 11
	v_lshlrev_b32_e32 v40, 4, v40
	v_sub_nc_u16 v45, v45, v48
	v_sub_nc_u16 v46, v46, v49
	v_add_co_u32 v43, s1, s12, v43
	v_add_co_ci_u32_e64 v44, s1, s13, v44, s1
	v_sub_nc_u16 v47, v47, v50
	v_lshlrev_b32_sdwa v75, v42, v45 dst_sel:DWORD dst_unused:UNUSED_PAD src0_sel:DWORD src1_sel:BYTE_0
	v_lshlrev_b32_sdwa v76, v42, v46 dst_sel:DWORD dst_unused:UNUSED_PAD src0_sel:DWORD src1_sel:BYTE_0
	global_load_dwordx4 v[43:46], v[43:44], off
	v_cmp_lt_u32_e64 s1, 10, v56
	v_lshlrev_b32_sdwa v77, v42, v47 dst_sel:DWORD dst_unused:UNUSED_PAD src0_sel:DWORD src1_sel:BYTE_0
	s_clause 0x2
	global_load_dwordx4 v[47:50], v75, s[12:13]
	global_load_dwordx4 v[57:60], v76, s[12:13]
	;; [unrolled: 1-line block ×3, first 2 shown]
	s_load_dwordx2 s[2:3], s[2:3], 0x0
	s_waitcnt vmcnt(0) lgkmcnt(0)
	s_barrier
	buffer_gl0_inv
	v_mul_f64 v[65:66], v[30:31], v[45:46]
	v_mul_f64 v[45:46], v[28:29], v[45:46]
	;; [unrolled: 1-line block ×8, first 2 shown]
	v_fma_f64 v[28:29], v[28:29], v[43:44], -v[65:66]
	v_fma_f64 v[30:31], v[30:31], v[43:44], v[45:46]
	v_fma_f64 v[43:44], v[24:25], v[47:48], -v[67:68]
	v_fma_f64 v[45:46], v[26:27], v[47:48], v[49:50]
	;; [unrolled: 2-line block ×4, first 2 shown]
	v_add_f64 v[24:25], v[8:9], -v[28:29]
	v_add_f64 v[26:27], v[10:11], -v[30:31]
	;; [unrolled: 1-line block ×8, first 2 shown]
	v_cndmask_b32_e64 v43, 0, 0x160, s1
	v_and_b32_e32 v44, 0xffff, v51
	v_and_b32_e32 v45, 0xffff, v73
	;; [unrolled: 1-line block ×3, first 2 shown]
	v_add_nc_u32_e32 v43, 0, v43
	v_add3_u32 v40, v43, v40, v141
	v_mad_u32_u24 v43, 0x160, v44, 0
	v_mad_u32_u24 v44, 0x160, v45, 0
	v_fma_f64 v[8:9], v[8:9], 2.0, -v[24:25]
	v_fma_f64 v[10:11], v[10:11], 2.0, -v[26:27]
	v_mad_u32_u24 v45, 0x160, v46, 0
	v_fma_f64 v[12:13], v[12:13], 2.0, -v[28:29]
	v_fma_f64 v[14:15], v[14:15], 2.0, -v[30:31]
	;; [unrolled: 1-line block ×6, first 2 shown]
	v_add3_u32 v43, v43, v75, v141
	v_add3_u32 v44, v44, v76, v141
	v_add3_u32 v45, v45, v77, v141
	ds_write_b128 v40, v[24:27] offset:176
	ds_write_b128 v40, v[8:11]
	ds_write_b128 v43, v[28:31] offset:176
	ds_write_b128 v43, v[12:15]
	ds_write_b128 v44, v[16:19]
	ds_write_b128 v44, v[32:35] offset:176
	ds_write_b128 v45, v[20:23]
	ds_write_b128 v45, v[36:39] offset:176
	s_and_saveexec_b32 s1, s0
	s_cbranch_execz .LBB0_18
; %bb.17:
	v_add_nc_u16 v8, v56, 0x58
	v_and_b32_e32 v9, 0xff, v8
	v_mul_lo_u16 v9, 0x75, v9
	v_lshrrev_b16 v9, 8, v9
	v_sub_nc_u16 v10, v8, v9
	v_lshrrev_b16 v10, 1, v10
	v_and_b32_e32 v10, 0x7f, v10
	v_add_nc_u16 v9, v10, v9
	v_lshrrev_b16 v9, 3, v9
	v_mul_lo_u16 v9, v9, 11
	v_sub_nc_u16 v8, v8, v9
	v_lshlrev_b32_sdwa v14, v42, v8 dst_sel:DWORD dst_unused:UNUSED_PAD src0_sel:DWORD src1_sel:BYTE_0
	global_load_dwordx4 v[8:11], v14, s[12:13]
	s_waitcnt vmcnt(0)
	v_mul_f64 v[12:13], v[4:5], v[10:11]
	v_mul_f64 v[10:11], v[6:7], v[10:11]
	v_fma_f64 v[6:7], v[6:7], v[8:9], v[12:13]
	v_fma_f64 v[4:5], v[4:5], v[8:9], -v[10:11]
	v_add3_u32 v8, 0, v14, v141
	v_add_f64 v[6:7], v[2:3], -v[6:7]
	v_add_f64 v[4:5], v[0:1], -v[4:5]
	v_fma_f64 v[2:3], v[2:3], 2.0, -v[6:7]
	v_fma_f64 v[0:1], v[0:1], 2.0, -v[4:5]
	ds_write_b128 v8, v[0:3] offset:2816
	ds_write_b128 v8, v[4:7] offset:2992
.LBB0_18:
	s_or_b32 exec_lo, exec_lo, s1
	v_lshlrev_b32_e32 v40, 3, v56
	s_waitcnt lgkmcnt(0)
	s_barrier
	buffer_gl0_inv
	s_mov_b32 s6, 0x8c811c17
	v_lshlrev_b64 v[0:1], 4, v[40:41]
	s_mov_b32 s8, 0xa2cf5039
	s_mov_b32 s5, 0x3fe491b7
	;; [unrolled: 1-line block ×5, first 2 shown]
	v_add_co_u32 v28, s1, s12, v0
	v_add_co_ci_u32_e64 v29, s1, s13, v1, s1
	s_mov_b32 s14, 0x7e0b738b
	s_mov_b32 s15, 0x3fc63a1a
	s_clause 0x7
	global_load_dwordx4 v[0:3], v[28:29], off offset:176
	global_load_dwordx4 v[4:7], v[28:29], off offset:288
	;; [unrolled: 1-line block ×8, first 2 shown]
	ds_read_b128 v[32:35], v140 offset:352
	ds_read_b128 v[36:39], v140 offset:2816
	;; [unrolled: 1-line block ×8, first 2 shown]
	s_waitcnt vmcnt(7) lgkmcnt(7)
	v_mul_f64 v[69:70], v[34:35], v[2:3]
	v_mul_f64 v[2:3], v[32:33], v[2:3]
	s_waitcnt vmcnt(6) lgkmcnt(6)
	v_mul_f64 v[71:72], v[38:39], v[6:7]
	v_mul_f64 v[6:7], v[36:37], v[6:7]
	;; [unrolled: 3-line block ×6, first 2 shown]
	v_fma_f64 v[32:33], v[32:33], v[0:1], -v[69:70]
	v_fma_f64 v[34:35], v[34:35], v[0:1], v[2:3]
	ds_read_b128 v[0:3], v138
	v_fma_f64 v[36:37], v[36:37], v[4:5], -v[71:72]
	v_fma_f64 v[4:5], v[38:39], v[4:5], v[6:7]
	v_fma_f64 v[6:7], v[40:41], v[8:9], -v[73:74]
	v_fma_f64 v[8:9], v[42:43], v[8:9], v[10:11]
	;; [unrolled: 2-line block ×5, first 2 shown]
	s_waitcnt vmcnt(1) lgkmcnt(2)
	v_mul_f64 v[22:23], v[63:64], v[26:27]
	v_mul_f64 v[26:27], v[61:62], v[26:27]
	s_waitcnt vmcnt(0) lgkmcnt(1)
	v_mul_f64 v[38:39], v[67:68], v[30:31]
	v_mul_f64 v[30:31], v[65:66], v[30:31]
	s_waitcnt lgkmcnt(0)
	s_barrier
	buffer_gl0_inv
	v_add_f64 v[40:41], v[32:33], -v[36:37]
	v_add_f64 v[42:43], v[34:35], -v[4:5]
	v_add_f64 v[32:33], v[32:33], v[36:37]
	v_add_f64 v[4:5], v[34:35], v[4:5]
	v_add_f64 v[34:35], v[6:7], v[10:11]
	v_add_f64 v[36:37], v[8:9], v[12:13]
	v_add_f64 v[44:45], v[6:7], -v[10:11]
	v_add_f64 v[46:47], v[8:9], -v[12:13]
	v_add_f64 v[48:49], v[14:15], v[18:19]
	v_add_f64 v[50:51], v[16:17], v[20:21]
	v_fma_f64 v[22:23], v[61:62], v[24:25], -v[22:23]
	v_fma_f64 v[24:25], v[63:64], v[24:25], v[26:27]
	v_fma_f64 v[26:27], v[65:66], v[28:29], -v[38:39]
	v_fma_f64 v[28:29], v[67:68], v[28:29], v[30:31]
	v_add_f64 v[14:15], v[14:15], -v[18:19]
	v_add_f64 v[16:17], v[16:17], -v[20:21]
	v_mul_f64 v[18:19], v[40:41], s[4:5]
	v_mul_f64 v[20:21], v[42:43], s[4:5]
	v_fma_f64 v[30:31], v[32:33], s[8:9], v[0:1]
	v_fma_f64 v[38:39], v[4:5], s[8:9], v[2:3]
	s_mov_b32 s5, 0xbfe491b7
	v_fma_f64 v[57:58], v[34:35], s[8:9], v[0:1]
	v_fma_f64 v[59:60], v[36:37], s[8:9], v[2:3]
	v_mul_f64 v[61:62], v[44:45], s[6:7]
	v_mul_f64 v[63:64], v[46:47], s[6:7]
	v_fma_f64 v[65:66], v[48:49], s[8:9], v[0:1]
	v_fma_f64 v[67:68], v[50:51], s[8:9], v[2:3]
	v_mul_f64 v[69:70], v[46:47], s[4:5]
	v_mul_f64 v[71:72], v[44:45], s[4:5]
	v_add_f64 v[73:74], v[22:23], v[26:27]
	v_add_f64 v[75:76], v[24:25], v[28:29]
	;; [unrolled: 1-line block ×4, first 2 shown]
	v_add_f64 v[22:23], v[22:23], -v[26:27]
	v_add_f64 v[24:25], v[24:25], -v[28:29]
	s_mov_b32 s8, 0xe8584cab
	s_mov_b32 s9, 0x3febb67a
	v_fma_f64 v[18:19], v[14:15], s[6:7], v[18:19]
	v_fma_f64 v[20:21], v[16:17], s[6:7], v[20:21]
	;; [unrolled: 1-line block ×6, first 2 shown]
	v_fma_f64 v[57:58], v[14:15], s[4:5], -v[61:62]
	v_fma_f64 v[59:60], v[16:17], s[4:5], -v[63:64]
	v_fma_f64 v[61:62], v[34:35], s[14:15], v[65:66]
	v_fma_f64 v[63:64], v[36:37], s[14:15], v[67:68]
	;; [unrolled: 1-line block ×4, first 2 shown]
	v_add_f64 v[69:70], v[44:45], v[40:41]
	v_add_f64 v[71:72], v[46:47], v[42:43]
	;; [unrolled: 1-line block ×8, first 2 shown]
	s_mov_b32 s5, 0xbfebb67a
	s_mov_b32 s4, s8
	v_fma_f64 v[18:19], v[22:23], s[8:9], v[18:19]
	v_fma_f64 v[20:21], v[24:25], s[8:9], v[20:21]
	v_fma_f64 v[26:27], v[73:74], -0.5, v[26:27]
	v_fma_f64 v[28:29], v[75:76], -0.5, v[28:29]
	;; [unrolled: 1-line block ×4, first 2 shown]
	v_fma_f64 v[57:58], v[22:23], s[8:9], v[57:58]
	v_fma_f64 v[59:60], v[24:25], s[8:9], v[59:60]
	v_fma_f64 v[61:62], v[73:74], -0.5, v[61:62]
	v_fma_f64 v[63:64], v[75:76], -0.5, v[63:64]
	v_fma_f64 v[24:25], v[24:25], s[4:5], v[65:66]
	v_fma_f64 v[22:23], v[22:23], s[4:5], v[67:68]
	s_mov_b32 s6, 0x748a0bf8
	s_mov_b32 s14, 0x42522d1b
	;; [unrolled: 1-line block ×4, first 2 shown]
	v_add_f64 v[6:7], v[6:7], v[77:78]
	v_add_f64 v[8:9], v[8:9], v[79:80]
	v_add_f64 v[65:66], v[69:70], -v[14:15]
	v_add_f64 v[67:68], v[71:72], -v[16:17]
	v_fma_f64 v[69:70], v[85:86], -0.5, v[81:82]
	v_fma_f64 v[71:72], v[87:88], -0.5, v[83:84]
	v_fma_f64 v[44:45], v[44:45], s[6:7], v[18:19]
	v_fma_f64 v[46:47], v[46:47], s[6:7], v[20:21]
	;; [unrolled: 1-line block ×12, first 2 shown]
	s_mov_b32 s6, exec_lo
	v_add_f64 v[42:43], v[10:11], v[6:7]
	v_add_f64 v[48:49], v[12:13], v[8:9]
	v_mul_f64 v[22:23], v[65:66], s[8:9]
	v_mul_f64 v[24:25], v[67:68], s[8:9]
	v_fma_f64 v[4:5], v[67:68], s[8:9], v[69:70]
	v_fma_f64 v[6:7], v[65:66], s[4:5], v[71:72]
	s_add_u32 s4, s12, 0xbb0
	s_addc_u32 s5, s13, 0
	v_add_f64 v[8:9], v[46:47], v[18:19]
	v_add_f64 v[10:11], v[20:21], -v[44:45]
	v_add_f64 v[12:13], v[34:35], v[32:33]
	v_add_f64 v[14:15], v[36:37], -v[30:31]
	;; [unrolled: 2-line block ×3, first 2 shown]
	v_add_f64 v[0:1], v[0:1], v[42:43]
	v_add_f64 v[2:3], v[2:3], v[48:49]
	v_fma_f64 v[20:21], v[24:25], -2.0, v[4:5]
	v_fma_f64 v[22:23], v[22:23], 2.0, v[6:7]
	v_fma_f64 v[24:25], v[46:47], -2.0, v[8:9]
	v_fma_f64 v[26:27], v[44:45], 2.0, v[10:11]
	;; [unrolled: 2-line block ×4, first 2 shown]
	ds_write_b128 v140, v[4:7] offset:1056
	ds_write_b128 v140, v[0:3]
	ds_write_b128 v140, v[8:11] offset:352
	ds_write_b128 v140, v[12:15] offset:1408
	;; [unrolled: 1-line block ×7, first 2 shown]
	s_waitcnt lgkmcnt(0)
	s_barrier
	buffer_gl0_inv
	ds_read_b128 v[4:7], v138
	v_sub_nc_u32_e32 v12, v137, v139
                                        ; implicit-def: $vgpr2_vgpr3
                                        ; implicit-def: $vgpr8_vgpr9
                                        ; implicit-def: $vgpr10_vgpr11
	v_cmpx_ne_u32_e32 0, v56
	s_xor_b32 s6, exec_lo, s6
	s_cbranch_execz .LBB0_20
; %bb.19:
	v_mov_b32_e32 v57, 0
	v_lshlrev_b64 v[0:1], 4, v[56:57]
	v_add_co_u32 v0, s1, s4, v0
	v_add_co_ci_u32_e64 v1, s1, s5, v1, s1
	global_load_dwordx4 v[13:16], v[0:1], off
	ds_read_b128 v[0:3], v12 offset:3168
	s_waitcnt lgkmcnt(0)
	v_add_f64 v[8:9], v[4:5], -v[0:1]
	v_add_f64 v[10:11], v[6:7], v[2:3]
	v_add_f64 v[2:3], v[6:7], -v[2:3]
	v_add_f64 v[0:1], v[4:5], v[0:1]
	v_mul_f64 v[6:7], v[8:9], 0.5
	v_mul_f64 v[4:5], v[10:11], 0.5
	;; [unrolled: 1-line block ×3, first 2 shown]
	s_waitcnt vmcnt(0)
	v_mul_f64 v[8:9], v[6:7], v[15:16]
	v_fma_f64 v[10:11], v[4:5], v[15:16], v[2:3]
	v_fma_f64 v[2:3], v[4:5], v[15:16], -v[2:3]
	v_fma_f64 v[17:18], v[0:1], 0.5, v[8:9]
	v_fma_f64 v[0:1], v[0:1], 0.5, -v[8:9]
	v_fma_f64 v[8:9], -v[13:14], v[6:7], v[10:11]
	v_mov_b32_e32 v10, v56
	v_fma_f64 v[2:3], -v[13:14], v[6:7], v[2:3]
	v_mov_b32_e32 v11, v57
	v_fma_f64 v[15:16], v[4:5], v[13:14], v[17:18]
	v_fma_f64 v[0:1], -v[4:5], v[13:14], v[0:1]
                                        ; implicit-def: $vgpr4_vgpr5
	ds_write_b64 v138, v[15:16]
.LBB0_20:
	s_andn2_saveexec_b32 s1, s6
	s_cbranch_execz .LBB0_22
; %bb.21:
	ds_read_b64 v[13:14], v137 offset:1592
	s_waitcnt lgkmcnt(1)
	v_add_f64 v[15:16], v[4:5], v[6:7]
	v_add_f64 v[0:1], v[4:5], -v[6:7]
	v_mov_b32_e32 v8, 0
	v_mov_b32_e32 v9, 0
	;; [unrolled: 1-line block ×6, first 2 shown]
	s_waitcnt lgkmcnt(0)
	v_xor_b32_e32 v14, 0x80000000, v14
	ds_write_b64 v138, v[15:16]
	ds_write_b64 v137, v[13:14] offset:1592
.LBB0_22:
	s_or_b32 exec_lo, exec_lo, s1
	s_waitcnt lgkmcnt(0)
	v_lshlrev_b64 v[4:5], 4, v[10:11]
	v_add_co_u32 v4, s1, s4, v4
	v_add_co_ci_u32_e64 v5, s1, s5, v5, s1
	s_clause 0x1
	global_load_dwordx4 v[13:16], v[4:5], off offset:352
	global_load_dwordx4 v[17:20], v[4:5], off offset:704
	ds_write_b64 v138, v[8:9] offset:8
	ds_write_b128 v12, v[0:3] offset:3168
	ds_read_b128 v[0:3], v138 offset:352
	ds_read_b128 v[6:9], v12 offset:2816
	global_load_dwordx4 v[21:24], v[4:5], off offset:1056
	s_waitcnt lgkmcnt(0)
	v_add_f64 v[10:11], v[0:1], -v[6:7]
	v_add_f64 v[25:26], v[2:3], v[8:9]
	v_add_f64 v[2:3], v[2:3], -v[8:9]
	v_add_f64 v[0:1], v[0:1], v[6:7]
	v_mul_f64 v[8:9], v[10:11], 0.5
	v_mul_f64 v[10:11], v[25:26], 0.5
	;; [unrolled: 1-line block ×3, first 2 shown]
	s_waitcnt vmcnt(2)
	v_mul_f64 v[6:7], v[8:9], v[15:16]
	v_fma_f64 v[25:26], v[10:11], v[15:16], v[2:3]
	v_fma_f64 v[15:16], v[10:11], v[15:16], -v[2:3]
	v_fma_f64 v[27:28], v[0:1], 0.5, v[6:7]
	v_fma_f64 v[6:7], v[0:1], 0.5, -v[6:7]
	v_fma_f64 v[2:3], -v[13:14], v[8:9], v[25:26]
	v_fma_f64 v[8:9], -v[13:14], v[8:9], v[15:16]
	v_fma_f64 v[0:1], v[10:11], v[13:14], v[27:28]
	v_fma_f64 v[6:7], -v[10:11], v[13:14], v[6:7]
	ds_write_b128 v138, v[0:3] offset:352
	ds_write_b128 v12, v[6:9] offset:2816
	ds_read_b128 v[0:3], v138 offset:704
	ds_read_b128 v[6:9], v12 offset:2464
	s_waitcnt lgkmcnt(0)
	v_add_f64 v[10:11], v[0:1], -v[6:7]
	v_add_f64 v[13:14], v[2:3], v[8:9]
	v_add_f64 v[2:3], v[2:3], -v[8:9]
	v_add_f64 v[0:1], v[0:1], v[6:7]
	v_mul_f64 v[8:9], v[10:11], 0.5
	v_mul_f64 v[10:11], v[13:14], 0.5
	;; [unrolled: 1-line block ×3, first 2 shown]
	s_waitcnt vmcnt(1)
	v_mul_f64 v[6:7], v[8:9], v[19:20]
	v_fma_f64 v[13:14], v[10:11], v[19:20], v[2:3]
	v_fma_f64 v[15:16], v[10:11], v[19:20], -v[2:3]
	v_fma_f64 v[19:20], v[0:1], 0.5, v[6:7]
	v_fma_f64 v[6:7], v[0:1], 0.5, -v[6:7]
	v_fma_f64 v[2:3], -v[17:18], v[8:9], v[13:14]
	v_fma_f64 v[8:9], -v[17:18], v[8:9], v[15:16]
	v_fma_f64 v[0:1], v[10:11], v[17:18], v[19:20]
	v_fma_f64 v[6:7], -v[10:11], v[17:18], v[6:7]
	ds_write_b128 v138, v[0:3] offset:704
	ds_write_b128 v12, v[6:9] offset:2464
	ds_read_b128 v[0:3], v138 offset:1056
	ds_read_b128 v[6:9], v12 offset:2112
	s_waitcnt lgkmcnt(0)
	v_add_f64 v[10:11], v[0:1], -v[6:7]
	v_add_f64 v[13:14], v[2:3], v[8:9]
	v_add_f64 v[2:3], v[2:3], -v[8:9]
	v_add_f64 v[0:1], v[0:1], v[6:7]
	v_mul_f64 v[8:9], v[10:11], 0.5
	v_mul_f64 v[10:11], v[13:14], 0.5
	;; [unrolled: 1-line block ×3, first 2 shown]
	s_waitcnt vmcnt(0)
	v_mul_f64 v[6:7], v[8:9], v[23:24]
	v_fma_f64 v[13:14], v[10:11], v[23:24], v[2:3]
	v_fma_f64 v[15:16], v[10:11], v[23:24], -v[2:3]
	v_fma_f64 v[17:18], v[0:1], 0.5, v[6:7]
	v_fma_f64 v[6:7], v[0:1], 0.5, -v[6:7]
	v_fma_f64 v[2:3], -v[21:22], v[8:9], v[13:14]
	v_fma_f64 v[8:9], -v[21:22], v[8:9], v[15:16]
	v_fma_f64 v[0:1], v[10:11], v[21:22], v[17:18]
	v_fma_f64 v[6:7], -v[10:11], v[21:22], v[6:7]
	ds_write_b128 v138, v[0:3] offset:1056
	ds_write_b128 v12, v[6:9] offset:2112
	s_and_saveexec_b32 s1, s0
	s_cbranch_execz .LBB0_24
; %bb.23:
	global_load_dwordx4 v[0:3], v[4:5], off offset:1408
	ds_read_b128 v[4:7], v138 offset:1408
	ds_read_b128 v[8:11], v12 offset:1760
	s_waitcnt lgkmcnt(0)
	v_add_f64 v[13:14], v[4:5], -v[8:9]
	v_add_f64 v[15:16], v[6:7], v[10:11]
	v_add_f64 v[6:7], v[6:7], -v[10:11]
	v_add_f64 v[4:5], v[4:5], v[8:9]
	v_mul_f64 v[10:11], v[13:14], 0.5
	v_mul_f64 v[13:14], v[15:16], 0.5
	;; [unrolled: 1-line block ×3, first 2 shown]
	s_waitcnt vmcnt(0)
	v_mul_f64 v[8:9], v[10:11], v[2:3]
	v_fma_f64 v[15:16], v[13:14], v[2:3], v[6:7]
	v_fma_f64 v[2:3], v[13:14], v[2:3], -v[6:7]
	v_fma_f64 v[6:7], v[4:5], 0.5, v[8:9]
	v_fma_f64 v[17:18], v[4:5], 0.5, -v[8:9]
	v_fma_f64 v[4:5], -v[0:1], v[10:11], v[15:16]
	v_fma_f64 v[8:9], -v[0:1], v[10:11], v[2:3]
	v_fma_f64 v[2:3], v[13:14], v[0:1], v[6:7]
	v_fma_f64 v[6:7], -v[13:14], v[0:1], v[17:18]
	ds_write_b128 v138, v[2:5] offset:1408
	ds_write_b128 v12, v[6:9] offset:1760
.LBB0_24:
	s_or_b32 exec_lo, exec_lo, s1
	s_waitcnt lgkmcnt(0)
	s_barrier
	buffer_gl0_inv
	s_and_saveexec_b32 s0, vcc_lo
	s_cbranch_execz .LBB0_27
; %bb.25:
	v_mul_lo_u32 v0, s3, v54
	v_mul_lo_u32 v3, s2, v55
	v_mad_u64_u32 v[1:2], null, s2, v54, 0
	v_mov_b32_e32 v57, 0
	v_lshlrev_b64 v[11:12], 4, v[52:53]
	v_add_nc_u32_e32 v13, 22, v56
	v_add_nc_u32_e32 v15, 44, v56
	v_add_nc_u32_e32 v19, 0x58, v56
	v_mov_b32_e32 v14, v57
	v_add3_u32 v2, v2, v3, v0
	v_lshl_add_u32 v0, v56, 4, v137
	v_lshlrev_b64 v[16:17], 4, v[56:57]
	ds_read_b128 v[3:6], v0
	ds_read_b128 v[7:10], v0 offset:352
	v_lshlrev_b64 v[1:2], 4, v[1:2]
	v_mov_b32_e32 v18, v57
	v_mov_b32_e32 v20, v57
	v_add_nc_u32_e32 v21, 0x6e, v56
	v_mov_b32_e32 v22, v57
	v_add_nc_u32_e32 v25, 0xb0, v56
	v_add_co_u32 v1, vcc_lo, s10, v1
	v_add_co_ci_u32_e32 v2, vcc_lo, s11, v2, vcc_lo
	v_lshlrev_b64 v[19:20], 4, v[19:20]
	v_add_co_u32 v1, vcc_lo, v1, v11
	v_add_co_ci_u32_e32 v2, vcc_lo, v2, v12, vcc_lo
	v_lshlrev_b64 v[11:12], 4, v[13:14]
	v_add_co_u32 v13, vcc_lo, v1, v16
	v_add_co_ci_u32_e32 v14, vcc_lo, v2, v17, vcc_lo
	v_mov_b32_e32 v16, v57
	v_add_co_u32 v11, vcc_lo, v1, v11
	v_add_co_ci_u32_e32 v12, vcc_lo, v2, v12, vcc_lo
	s_waitcnt lgkmcnt(1)
	global_store_dwordx4 v[13:14], v[3:6], off
	v_add_nc_u32_e32 v17, 0x42, v56
	v_lshlrev_b64 v[15:16], 4, v[15:16]
	s_waitcnt lgkmcnt(0)
	global_store_dwordx4 v[11:12], v[7:10], off
	ds_read_b128 v[3:6], v0 offset:704
	ds_read_b128 v[7:10], v0 offset:1056
	;; [unrolled: 1-line block ×3, first 2 shown]
	v_lshlrev_b64 v[17:18], 4, v[17:18]
	v_mov_b32_e32 v26, v57
	v_add_co_u32 v15, vcc_lo, v1, v15
	v_add_co_ci_u32_e32 v16, vcc_lo, v2, v16, vcc_lo
	v_add_co_u32 v17, vcc_lo, v1, v17
	v_add_co_ci_u32_e32 v18, vcc_lo, v2, v18, vcc_lo
	v_add_co_u32 v19, vcc_lo, v1, v19
	s_waitcnt lgkmcnt(2)
	global_store_dwordx4 v[15:16], v[3:6], off
	s_waitcnt lgkmcnt(1)
	global_store_dwordx4 v[17:18], v[7:10], off
	v_lshlrev_b64 v[7:8], 4, v[21:22]
	v_add_co_ci_u32_e32 v20, vcc_lo, v2, v20, vcc_lo
	v_add_nc_u32_e32 v9, 0x84, v56
	v_mov_b32_e32 v10, v57
	v_add_nc_u32_e32 v15, 0x9a, v56
	s_waitcnt lgkmcnt(0)
	global_store_dwordx4 v[19:20], v[11:14], off
	v_mov_b32_e32 v16, v57
	v_add_co_u32 v19, vcc_lo, v1, v7
	ds_read_b128 v[3:6], v0 offset:1760
	v_add_co_ci_u32_e32 v20, vcc_lo, v2, v8, vcc_lo
	v_lshlrev_b64 v[21:22], 4, v[9:10]
	ds_read_b128 v[7:10], v0 offset:2112
	ds_read_b128 v[11:14], v0 offset:2464
	v_lshlrev_b64 v[23:24], 4, v[15:16]
	ds_read_b128 v[15:18], v0 offset:2816
	v_lshlrev_b64 v[25:26], 4, v[25:26]
	v_add_co_u32 v21, vcc_lo, v1, v21
	v_add_co_ci_u32_e32 v22, vcc_lo, v2, v22, vcc_lo
	v_add_co_u32 v23, vcc_lo, v1, v23
	v_add_co_ci_u32_e32 v24, vcc_lo, v2, v24, vcc_lo
	;; [unrolled: 2-line block ×3, first 2 shown]
	v_cmp_eq_u32_e32 vcc_lo, 21, v56
	s_waitcnt lgkmcnt(3)
	global_store_dwordx4 v[19:20], v[3:6], off
	s_waitcnt lgkmcnt(2)
	global_store_dwordx4 v[21:22], v[7:10], off
	;; [unrolled: 2-line block ×4, first 2 shown]
	s_and_b32 exec_lo, exec_lo, vcc_lo
	s_cbranch_execz .LBB0_27
; %bb.26:
	ds_read_b128 v[3:6], v0 offset:2832
	v_add_co_u32 v0, vcc_lo, 0x800, v1
	v_add_co_ci_u32_e32 v1, vcc_lo, 0, v2, vcc_lo
	s_waitcnt lgkmcnt(0)
	global_store_dwordx4 v[0:1], v[3:6], off offset:1120
.LBB0_27:
	s_endpgm
	.section	.rodata,"a",@progbits
	.p2align	6, 0x0
	.amdhsa_kernel fft_rtc_fwd_len198_factors_11_2_9_wgs_110_tpt_22_dp_op_CI_CI_unitstride_sbrr_R2C_dirReg
		.amdhsa_group_segment_fixed_size 0
		.amdhsa_private_segment_fixed_size 0
		.amdhsa_kernarg_size 104
		.amdhsa_user_sgpr_count 6
		.amdhsa_user_sgpr_private_segment_buffer 1
		.amdhsa_user_sgpr_dispatch_ptr 0
		.amdhsa_user_sgpr_queue_ptr 0
		.amdhsa_user_sgpr_kernarg_segment_ptr 1
		.amdhsa_user_sgpr_dispatch_id 0
		.amdhsa_user_sgpr_flat_scratch_init 0
		.amdhsa_user_sgpr_private_segment_size 0
		.amdhsa_wavefront_size32 1
		.amdhsa_uses_dynamic_stack 0
		.amdhsa_system_sgpr_private_segment_wavefront_offset 0
		.amdhsa_system_sgpr_workgroup_id_x 1
		.amdhsa_system_sgpr_workgroup_id_y 0
		.amdhsa_system_sgpr_workgroup_id_z 0
		.amdhsa_system_sgpr_workgroup_info 0
		.amdhsa_system_vgpr_workitem_id 0
		.amdhsa_next_free_vgpr 195
		.amdhsa_next_free_sgpr 38
		.amdhsa_reserve_vcc 1
		.amdhsa_reserve_flat_scratch 0
		.amdhsa_float_round_mode_32 0
		.amdhsa_float_round_mode_16_64 0
		.amdhsa_float_denorm_mode_32 3
		.amdhsa_float_denorm_mode_16_64 3
		.amdhsa_dx10_clamp 1
		.amdhsa_ieee_mode 1
		.amdhsa_fp16_overflow 0
		.amdhsa_workgroup_processor_mode 1
		.amdhsa_memory_ordered 1
		.amdhsa_forward_progress 0
		.amdhsa_shared_vgpr_count 0
		.amdhsa_exception_fp_ieee_invalid_op 0
		.amdhsa_exception_fp_denorm_src 0
		.amdhsa_exception_fp_ieee_div_zero 0
		.amdhsa_exception_fp_ieee_overflow 0
		.amdhsa_exception_fp_ieee_underflow 0
		.amdhsa_exception_fp_ieee_inexact 0
		.amdhsa_exception_int_div_zero 0
	.end_amdhsa_kernel
	.text
.Lfunc_end0:
	.size	fft_rtc_fwd_len198_factors_11_2_9_wgs_110_tpt_22_dp_op_CI_CI_unitstride_sbrr_R2C_dirReg, .Lfunc_end0-fft_rtc_fwd_len198_factors_11_2_9_wgs_110_tpt_22_dp_op_CI_CI_unitstride_sbrr_R2C_dirReg
                                        ; -- End function
	.section	.AMDGPU.csdata,"",@progbits
; Kernel info:
; codeLenInByte = 8968
; NumSgprs: 40
; NumVgprs: 195
; ScratchSize: 0
; MemoryBound: 0
; FloatMode: 240
; IeeeMode: 1
; LDSByteSize: 0 bytes/workgroup (compile time only)
; SGPRBlocks: 4
; VGPRBlocks: 24
; NumSGPRsForWavesPerEU: 40
; NumVGPRsForWavesPerEU: 195
; Occupancy: 4
; WaveLimiterHint : 1
; COMPUTE_PGM_RSRC2:SCRATCH_EN: 0
; COMPUTE_PGM_RSRC2:USER_SGPR: 6
; COMPUTE_PGM_RSRC2:TRAP_HANDLER: 0
; COMPUTE_PGM_RSRC2:TGID_X_EN: 1
; COMPUTE_PGM_RSRC2:TGID_Y_EN: 0
; COMPUTE_PGM_RSRC2:TGID_Z_EN: 0
; COMPUTE_PGM_RSRC2:TIDIG_COMP_CNT: 0
	.text
	.p2alignl 6, 3214868480
	.fill 48, 4, 3214868480
	.type	__hip_cuid_68b5cdae8c7a3ddc,@object ; @__hip_cuid_68b5cdae8c7a3ddc
	.section	.bss,"aw",@nobits
	.globl	__hip_cuid_68b5cdae8c7a3ddc
__hip_cuid_68b5cdae8c7a3ddc:
	.byte	0                               ; 0x0
	.size	__hip_cuid_68b5cdae8c7a3ddc, 1

	.ident	"AMD clang version 19.0.0git (https://github.com/RadeonOpenCompute/llvm-project roc-6.4.0 25133 c7fe45cf4b819c5991fe208aaa96edf142730f1d)"
	.section	".note.GNU-stack","",@progbits
	.addrsig
	.addrsig_sym __hip_cuid_68b5cdae8c7a3ddc
	.amdgpu_metadata
---
amdhsa.kernels:
  - .args:
      - .actual_access:  read_only
        .address_space:  global
        .offset:         0
        .size:           8
        .value_kind:     global_buffer
      - .offset:         8
        .size:           8
        .value_kind:     by_value
      - .actual_access:  read_only
        .address_space:  global
        .offset:         16
        .size:           8
        .value_kind:     global_buffer
      - .actual_access:  read_only
        .address_space:  global
        .offset:         24
        .size:           8
        .value_kind:     global_buffer
      - .actual_access:  read_only
        .address_space:  global
        .offset:         32
        .size:           8
        .value_kind:     global_buffer
      - .offset:         40
        .size:           8
        .value_kind:     by_value
      - .actual_access:  read_only
        .address_space:  global
        .offset:         48
        .size:           8
        .value_kind:     global_buffer
      - .actual_access:  read_only
        .address_space:  global
        .offset:         56
        .size:           8
        .value_kind:     global_buffer
      - .offset:         64
        .size:           4
        .value_kind:     by_value
      - .actual_access:  read_only
        .address_space:  global
        .offset:         72
        .size:           8
        .value_kind:     global_buffer
      - .actual_access:  read_only
        .address_space:  global
        .offset:         80
        .size:           8
        .value_kind:     global_buffer
      - .actual_access:  read_only
        .address_space:  global
        .offset:         88
        .size:           8
        .value_kind:     global_buffer
      - .actual_access:  write_only
        .address_space:  global
        .offset:         96
        .size:           8
        .value_kind:     global_buffer
    .group_segment_fixed_size: 0
    .kernarg_segment_align: 8
    .kernarg_segment_size: 104
    .language:       OpenCL C
    .language_version:
      - 2
      - 0
    .max_flat_workgroup_size: 110
    .name:           fft_rtc_fwd_len198_factors_11_2_9_wgs_110_tpt_22_dp_op_CI_CI_unitstride_sbrr_R2C_dirReg
    .private_segment_fixed_size: 0
    .sgpr_count:     40
    .sgpr_spill_count: 0
    .symbol:         fft_rtc_fwd_len198_factors_11_2_9_wgs_110_tpt_22_dp_op_CI_CI_unitstride_sbrr_R2C_dirReg.kd
    .uniform_work_group_size: 1
    .uses_dynamic_stack: false
    .vgpr_count:     195
    .vgpr_spill_count: 0
    .wavefront_size: 32
    .workgroup_processor_mode: 1
amdhsa.target:   amdgcn-amd-amdhsa--gfx1030
amdhsa.version:
  - 1
  - 2
...

	.end_amdgpu_metadata
